;; amdgpu-corpus repo=ROCm/rocFFT kind=compiled arch=gfx1100 opt=O3
	.text
	.amdgcn_target "amdgcn-amd-amdhsa--gfx1100"
	.amdhsa_code_object_version 6
	.protected	fft_rtc_back_len450_factors_10_5_3_3_wgs_120_tpt_30_halfLds_half_ip_CI_sbrr_dirReg ; -- Begin function fft_rtc_back_len450_factors_10_5_3_3_wgs_120_tpt_30_halfLds_half_ip_CI_sbrr_dirReg
	.globl	fft_rtc_back_len450_factors_10_5_3_3_wgs_120_tpt_30_halfLds_half_ip_CI_sbrr_dirReg
	.p2align	8
	.type	fft_rtc_back_len450_factors_10_5_3_3_wgs_120_tpt_30_halfLds_half_ip_CI_sbrr_dirReg,@function
fft_rtc_back_len450_factors_10_5_3_3_wgs_120_tpt_30_halfLds_half_ip_CI_sbrr_dirReg: ; @fft_rtc_back_len450_factors_10_5_3_3_wgs_120_tpt_30_halfLds_half_ip_CI_sbrr_dirReg
; %bb.0:
	s_clause 0x2
	s_load_b64 s[12:13], s[0:1], 0x18
	s_load_b128 s[4:7], s[0:1], 0x0
	s_load_b64 s[10:11], s[0:1], 0x50
	v_mul_u32_u24_e32 v1, 0x889, v0
	v_mov_b32_e32 v3, 0
	v_mov_b32_e32 v4, 0
	s_delay_alu instid0(VALU_DEP_3) | instskip(SKIP_1) | instid1(VALU_DEP_2)
	v_lshrrev_b32_e32 v9, 16, v1
	v_mov_b32_e32 v1, 0
	v_lshl_add_u32 v5, s15, 2, v9
	s_delay_alu instid0(VALU_DEP_2) | instskip(SKIP_3) | instid1(VALU_DEP_1)
	v_mov_b32_e32 v6, v1
	s_waitcnt lgkmcnt(0)
	s_load_b64 s[8:9], s[12:13], 0x0
	v_cmp_lt_u64_e64 s2, s[6:7], 2
	s_and_b32 vcc_lo, exec_lo, s2
	s_cbranch_vccnz .LBB0_8
; %bb.1:
	s_load_b64 s[2:3], s[0:1], 0x10
	v_mov_b32_e32 v3, 0
	s_add_u32 s14, s12, 8
	v_mov_b32_e32 v4, 0
	s_addc_u32 s15, s13, 0
	s_mov_b64 s[18:19], 1
	s_waitcnt lgkmcnt(0)
	s_add_u32 s16, s2, 8
	s_addc_u32 s17, s3, 0
.LBB0_2:                                ; =>This Inner Loop Header: Depth=1
	s_load_b64 s[20:21], s[16:17], 0x0
                                        ; implicit-def: $vgpr7_vgpr8
	s_mov_b32 s2, exec_lo
	s_waitcnt lgkmcnt(0)
	v_or_b32_e32 v2, s21, v6
	s_delay_alu instid0(VALU_DEP_1)
	v_cmpx_ne_u64_e32 0, v[1:2]
	s_xor_b32 s3, exec_lo, s2
	s_cbranch_execz .LBB0_4
; %bb.3:                                ;   in Loop: Header=BB0_2 Depth=1
	v_cvt_f32_u32_e32 v2, s20
	v_cvt_f32_u32_e32 v7, s21
	s_sub_u32 s2, 0, s20
	s_subb_u32 s22, 0, s21
	s_delay_alu instid0(VALU_DEP_1) | instskip(NEXT) | instid1(VALU_DEP_1)
	v_fmac_f32_e32 v2, 0x4f800000, v7
	v_rcp_f32_e32 v2, v2
	s_waitcnt_depctr 0xfff
	v_mul_f32_e32 v2, 0x5f7ffffc, v2
	s_delay_alu instid0(VALU_DEP_1) | instskip(NEXT) | instid1(VALU_DEP_1)
	v_mul_f32_e32 v7, 0x2f800000, v2
	v_trunc_f32_e32 v7, v7
	s_delay_alu instid0(VALU_DEP_1) | instskip(SKIP_1) | instid1(VALU_DEP_2)
	v_fmac_f32_e32 v2, 0xcf800000, v7
	v_cvt_u32_f32_e32 v7, v7
	v_cvt_u32_f32_e32 v2, v2
	s_delay_alu instid0(VALU_DEP_2) | instskip(NEXT) | instid1(VALU_DEP_2)
	v_mul_lo_u32 v8, s2, v7
	v_mul_hi_u32 v10, s2, v2
	v_mul_lo_u32 v11, s22, v2
	s_delay_alu instid0(VALU_DEP_2) | instskip(SKIP_1) | instid1(VALU_DEP_2)
	v_add_nc_u32_e32 v8, v10, v8
	v_mul_lo_u32 v10, s2, v2
	v_add_nc_u32_e32 v8, v8, v11
	s_delay_alu instid0(VALU_DEP_2) | instskip(NEXT) | instid1(VALU_DEP_2)
	v_mul_hi_u32 v11, v2, v10
	v_mul_lo_u32 v12, v2, v8
	v_mul_hi_u32 v13, v2, v8
	v_mul_hi_u32 v14, v7, v10
	v_mul_lo_u32 v10, v7, v10
	v_mul_hi_u32 v15, v7, v8
	v_mul_lo_u32 v8, v7, v8
	v_add_co_u32 v11, vcc_lo, v11, v12
	v_add_co_ci_u32_e32 v12, vcc_lo, 0, v13, vcc_lo
	s_delay_alu instid0(VALU_DEP_2) | instskip(NEXT) | instid1(VALU_DEP_2)
	v_add_co_u32 v10, vcc_lo, v11, v10
	v_add_co_ci_u32_e32 v10, vcc_lo, v12, v14, vcc_lo
	v_add_co_ci_u32_e32 v11, vcc_lo, 0, v15, vcc_lo
	s_delay_alu instid0(VALU_DEP_2) | instskip(NEXT) | instid1(VALU_DEP_2)
	v_add_co_u32 v8, vcc_lo, v10, v8
	v_add_co_ci_u32_e32 v10, vcc_lo, 0, v11, vcc_lo
	s_delay_alu instid0(VALU_DEP_2) | instskip(NEXT) | instid1(VALU_DEP_2)
	v_add_co_u32 v2, vcc_lo, v2, v8
	v_add_co_ci_u32_e32 v7, vcc_lo, v7, v10, vcc_lo
	s_delay_alu instid0(VALU_DEP_2) | instskip(SKIP_1) | instid1(VALU_DEP_3)
	v_mul_hi_u32 v8, s2, v2
	v_mul_lo_u32 v11, s22, v2
	v_mul_lo_u32 v10, s2, v7
	s_delay_alu instid0(VALU_DEP_1) | instskip(SKIP_1) | instid1(VALU_DEP_2)
	v_add_nc_u32_e32 v8, v8, v10
	v_mul_lo_u32 v10, s2, v2
	v_add_nc_u32_e32 v8, v8, v11
	s_delay_alu instid0(VALU_DEP_2) | instskip(NEXT) | instid1(VALU_DEP_2)
	v_mul_hi_u32 v11, v2, v10
	v_mul_lo_u32 v12, v2, v8
	v_mul_hi_u32 v13, v2, v8
	v_mul_hi_u32 v14, v7, v10
	v_mul_lo_u32 v10, v7, v10
	v_mul_hi_u32 v15, v7, v8
	v_mul_lo_u32 v8, v7, v8
	v_add_co_u32 v11, vcc_lo, v11, v12
	v_add_co_ci_u32_e32 v12, vcc_lo, 0, v13, vcc_lo
	s_delay_alu instid0(VALU_DEP_2) | instskip(NEXT) | instid1(VALU_DEP_2)
	v_add_co_u32 v10, vcc_lo, v11, v10
	v_add_co_ci_u32_e32 v10, vcc_lo, v12, v14, vcc_lo
	v_add_co_ci_u32_e32 v11, vcc_lo, 0, v15, vcc_lo
	s_delay_alu instid0(VALU_DEP_2) | instskip(NEXT) | instid1(VALU_DEP_2)
	v_add_co_u32 v8, vcc_lo, v10, v8
	v_add_co_ci_u32_e32 v10, vcc_lo, 0, v11, vcc_lo
	s_delay_alu instid0(VALU_DEP_2) | instskip(NEXT) | instid1(VALU_DEP_2)
	v_add_co_u32 v2, vcc_lo, v2, v8
	v_add_co_ci_u32_e32 v14, vcc_lo, v7, v10, vcc_lo
	s_delay_alu instid0(VALU_DEP_2) | instskip(SKIP_1) | instid1(VALU_DEP_3)
	v_mul_hi_u32 v15, v5, v2
	v_mad_u64_u32 v[10:11], null, v6, v2, 0
	v_mad_u64_u32 v[7:8], null, v5, v14, 0
	v_mad_u64_u32 v[12:13], null, v6, v14, 0
	s_delay_alu instid0(VALU_DEP_2) | instskip(NEXT) | instid1(VALU_DEP_3)
	v_add_co_u32 v2, vcc_lo, v15, v7
	v_add_co_ci_u32_e32 v7, vcc_lo, 0, v8, vcc_lo
	s_delay_alu instid0(VALU_DEP_2) | instskip(NEXT) | instid1(VALU_DEP_2)
	v_add_co_u32 v2, vcc_lo, v2, v10
	v_add_co_ci_u32_e32 v2, vcc_lo, v7, v11, vcc_lo
	v_add_co_ci_u32_e32 v7, vcc_lo, 0, v13, vcc_lo
	s_delay_alu instid0(VALU_DEP_2) | instskip(NEXT) | instid1(VALU_DEP_2)
	v_add_co_u32 v2, vcc_lo, v2, v12
	v_add_co_ci_u32_e32 v10, vcc_lo, 0, v7, vcc_lo
	s_delay_alu instid0(VALU_DEP_2) | instskip(SKIP_1) | instid1(VALU_DEP_3)
	v_mul_lo_u32 v11, s21, v2
	v_mad_u64_u32 v[7:8], null, s20, v2, 0
	v_mul_lo_u32 v12, s20, v10
	s_delay_alu instid0(VALU_DEP_2) | instskip(NEXT) | instid1(VALU_DEP_2)
	v_sub_co_u32 v7, vcc_lo, v5, v7
	v_add3_u32 v8, v8, v12, v11
	s_delay_alu instid0(VALU_DEP_1) | instskip(NEXT) | instid1(VALU_DEP_1)
	v_sub_nc_u32_e32 v11, v6, v8
	v_subrev_co_ci_u32_e64 v11, s2, s21, v11, vcc_lo
	v_add_co_u32 v12, s2, v2, 2
	s_delay_alu instid0(VALU_DEP_1) | instskip(SKIP_3) | instid1(VALU_DEP_3)
	v_add_co_ci_u32_e64 v13, s2, 0, v10, s2
	v_sub_co_u32 v14, s2, v7, s20
	v_sub_co_ci_u32_e32 v8, vcc_lo, v6, v8, vcc_lo
	v_subrev_co_ci_u32_e64 v11, s2, 0, v11, s2
	v_cmp_le_u32_e32 vcc_lo, s20, v14
	s_delay_alu instid0(VALU_DEP_3) | instskip(SKIP_1) | instid1(VALU_DEP_4)
	v_cmp_eq_u32_e64 s2, s21, v8
	v_cndmask_b32_e64 v14, 0, -1, vcc_lo
	v_cmp_le_u32_e32 vcc_lo, s21, v11
	v_cndmask_b32_e64 v15, 0, -1, vcc_lo
	v_cmp_le_u32_e32 vcc_lo, s20, v7
	;; [unrolled: 2-line block ×3, first 2 shown]
	v_cndmask_b32_e64 v16, 0, -1, vcc_lo
	v_cmp_eq_u32_e32 vcc_lo, s21, v11
	s_delay_alu instid0(VALU_DEP_2) | instskip(SKIP_3) | instid1(VALU_DEP_3)
	v_cndmask_b32_e64 v7, v16, v7, s2
	v_cndmask_b32_e32 v11, v15, v14, vcc_lo
	v_add_co_u32 v14, vcc_lo, v2, 1
	v_add_co_ci_u32_e32 v15, vcc_lo, 0, v10, vcc_lo
	v_cmp_ne_u32_e32 vcc_lo, 0, v11
	s_delay_alu instid0(VALU_DEP_2) | instskip(SKIP_1) | instid1(VALU_DEP_2)
	v_dual_cndmask_b32 v8, v15, v13 :: v_dual_cndmask_b32 v11, v14, v12
	v_cmp_ne_u32_e32 vcc_lo, 0, v7
	v_cndmask_b32_e32 v7, v2, v11, vcc_lo
	s_delay_alu instid0(VALU_DEP_3)
	v_cndmask_b32_e32 v8, v10, v8, vcc_lo
.LBB0_4:                                ;   in Loop: Header=BB0_2 Depth=1
	s_and_not1_saveexec_b32 s2, s3
	s_cbranch_execz .LBB0_6
; %bb.5:                                ;   in Loop: Header=BB0_2 Depth=1
	v_cvt_f32_u32_e32 v2, s20
	s_sub_i32 s3, 0, s20
	s_delay_alu instid0(VALU_DEP_1) | instskip(SKIP_2) | instid1(VALU_DEP_1)
	v_rcp_iflag_f32_e32 v2, v2
	s_waitcnt_depctr 0xfff
	v_mul_f32_e32 v2, 0x4f7ffffe, v2
	v_cvt_u32_f32_e32 v2, v2
	s_delay_alu instid0(VALU_DEP_1) | instskip(NEXT) | instid1(VALU_DEP_1)
	v_mul_lo_u32 v7, s3, v2
	v_mul_hi_u32 v7, v2, v7
	s_delay_alu instid0(VALU_DEP_1) | instskip(NEXT) | instid1(VALU_DEP_1)
	v_add_nc_u32_e32 v2, v2, v7
	v_mul_hi_u32 v2, v5, v2
	s_delay_alu instid0(VALU_DEP_1) | instskip(SKIP_1) | instid1(VALU_DEP_2)
	v_mul_lo_u32 v7, v2, s20
	v_add_nc_u32_e32 v8, 1, v2
	v_sub_nc_u32_e32 v7, v5, v7
	s_delay_alu instid0(VALU_DEP_1) | instskip(SKIP_1) | instid1(VALU_DEP_2)
	v_subrev_nc_u32_e32 v10, s20, v7
	v_cmp_le_u32_e32 vcc_lo, s20, v7
	v_dual_cndmask_b32 v7, v7, v10 :: v_dual_cndmask_b32 v2, v2, v8
	s_delay_alu instid0(VALU_DEP_1) | instskip(NEXT) | instid1(VALU_DEP_2)
	v_cmp_le_u32_e32 vcc_lo, s20, v7
	v_add_nc_u32_e32 v8, 1, v2
	s_delay_alu instid0(VALU_DEP_1)
	v_dual_cndmask_b32 v7, v2, v8 :: v_dual_mov_b32 v8, v1
.LBB0_6:                                ;   in Loop: Header=BB0_2 Depth=1
	s_or_b32 exec_lo, exec_lo, s2
	s_load_b64 s[2:3], s[14:15], 0x0
	s_delay_alu instid0(VALU_DEP_1) | instskip(NEXT) | instid1(VALU_DEP_2)
	v_mul_lo_u32 v2, v8, s20
	v_mul_lo_u32 v12, v7, s21
	v_mad_u64_u32 v[10:11], null, v7, s20, 0
	s_add_u32 s18, s18, 1
	s_addc_u32 s19, s19, 0
	s_add_u32 s14, s14, 8
	s_addc_u32 s15, s15, 0
	;; [unrolled: 2-line block ×3, first 2 shown]
	s_delay_alu instid0(VALU_DEP_1) | instskip(SKIP_1) | instid1(VALU_DEP_2)
	v_add3_u32 v2, v11, v12, v2
	v_sub_co_u32 v10, vcc_lo, v5, v10
	v_sub_co_ci_u32_e32 v2, vcc_lo, v6, v2, vcc_lo
	s_waitcnt lgkmcnt(0)
	s_delay_alu instid0(VALU_DEP_2) | instskip(NEXT) | instid1(VALU_DEP_2)
	v_mul_lo_u32 v11, s3, v10
	v_mul_lo_u32 v2, s2, v2
	v_mad_u64_u32 v[5:6], null, s2, v10, v[3:4]
	v_cmp_ge_u64_e64 s2, s[18:19], s[6:7]
	s_delay_alu instid0(VALU_DEP_1) | instskip(NEXT) | instid1(VALU_DEP_2)
	s_and_b32 vcc_lo, exec_lo, s2
	v_add3_u32 v4, v11, v6, v2
	s_delay_alu instid0(VALU_DEP_3)
	v_mov_b32_e32 v3, v5
	s_cbranch_vccnz .LBB0_9
; %bb.7:                                ;   in Loop: Header=BB0_2 Depth=1
	v_dual_mov_b32 v5, v7 :: v_dual_mov_b32 v6, v8
	s_branch .LBB0_2
.LBB0_8:
	v_dual_mov_b32 v8, v6 :: v_dual_mov_b32 v7, v5
.LBB0_9:
	s_lshl_b64 s[2:3], s[6:7], 3
	v_mul_hi_u32 v5, 0x8888889, v0
	s_add_u32 s2, s12, s2
	s_addc_u32 s3, s13, s3
                                        ; implicit-def: $vgpr15
                                        ; implicit-def: $vgpr16
                                        ; implicit-def: $vgpr14
                                        ; implicit-def: $vgpr23
                                        ; implicit-def: $vgpr39
                                        ; implicit-def: $vgpr25
                                        ; implicit-def: $vgpr24
                                        ; implicit-def: $vgpr37
                                        ; implicit-def: $vgpr26
                                        ; implicit-def: $vgpr29
                                        ; implicit-def: $vgpr38
                                        ; implicit-def: $vgpr27
                                        ; implicit-def: $vgpr30
                                        ; implicit-def: $vgpr40
                                        ; implicit-def: $vgpr28
                                        ; implicit-def: $vgpr31
                                        ; implicit-def: $vgpr17
                                        ; implicit-def: $vgpr22
                                        ; implicit-def: $vgpr11
                                        ; implicit-def: $vgpr33
                                        ; implicit-def: $vgpr32
                                        ; implicit-def: $vgpr34
                                        ; implicit-def: $vgpr35
                                        ; implicit-def: $vgpr36
	s_load_b64 s[2:3], s[2:3], 0x0
	s_load_b64 s[0:1], s[0:1], 0x20
	s_waitcnt lgkmcnt(0)
	v_mul_lo_u32 v6, s2, v8
	v_mul_lo_u32 v10, s3, v7
	v_mad_u64_u32 v[1:2], null, s2, v7, v[3:4]
	v_mul_u32_u24_e32 v3, 30, v5
	v_cmp_gt_u64_e32 vcc_lo, s[0:1], v[7:8]
                                        ; implicit-def: $vgpr7
                                        ; implicit-def: $vgpr4
                                        ; implicit-def: $vgpr5
                                        ; implicit-def: $vgpr8
	s_delay_alu instid0(VALU_DEP_2) | instskip(NEXT) | instid1(VALU_DEP_4)
	v_sub_nc_u32_e32 v19, v0, v3
	v_add3_u32 v2, v10, v2, v6
                                        ; implicit-def: $vgpr10
                                        ; implicit-def: $vgpr3
                                        ; implicit-def: $vgpr6
                                        ; implicit-def: $vgpr0
	s_delay_alu instid0(VALU_DEP_2) | instskip(NEXT) | instid1(VALU_DEP_2)
	v_add_nc_u32_e32 v18, 0x5a, v19
	v_lshlrev_b64 v[12:13], 2, v[1:2]
	v_add_nc_u32_e32 v21, 0xb4, v19
	v_add_nc_u32_e32 v20, 0x168, v19
                                        ; implicit-def: $vgpr1
                                        ; implicit-def: $vgpr2
	s_and_saveexec_b32 s1, vcc_lo
	s_cbranch_execz .LBB0_13
; %bb.10:
	v_add_nc_u32_e32 v10, 45, v19
	v_mad_u64_u32 v[0:1], null, s8, v19, 0
	v_mad_u64_u32 v[4:5], null, s8, v18, 0
	s_delay_alu instid0(VALU_DEP_3) | instskip(SKIP_2) | instid1(VALU_DEP_1)
	v_mad_u64_u32 v[2:3], null, s8, v10, 0
	v_add_nc_u32_e32 v14, 0x87, v19
	v_add_co_u32 v17, s0, s10, v12
	v_add_co_ci_u32_e64 v23, s0, s11, v13, s0
	s_mov_b32 s2, exec_lo
	s_delay_alu instid0(VALU_DEP_4) | instskip(SKIP_4) | instid1(VALU_DEP_4)
	v_mad_u64_u32 v[6:7], null, s9, v19, v[1:2]
	v_mov_b32_e32 v1, v3
	v_mov_b32_e32 v3, v5
                                        ; implicit-def: $vgpr36
	v_add_nc_u32_e32 v22, 0xe1, v19
	v_add_nc_u32_e32 v29, 0x10e, v19
	v_mad_u64_u32 v[7:8], null, s9, v10, v[1:2]
	v_mad_u64_u32 v[10:11], null, s8, v14, 0
	v_mov_b32_e32 v1, v6
	v_mad_u64_u32 v[5:6], null, s9, v18, v[3:4]
	v_mad_u64_u32 v[24:25], null, s8, v29, 0
	v_mov_b32_e32 v3, v7
	v_mov_b32_e32 v6, v11
	v_lshlrev_b64 v[0:1], 2, v[0:1]
	v_lshlrev_b64 v[4:5], 2, v[4:5]
	s_delay_alu instid0(VALU_DEP_4) | instskip(NEXT) | instid1(VALU_DEP_4)
	v_lshlrev_b64 v[2:3], 2, v[2:3]
	v_mad_u64_u32 v[7:8], null, s9, v14, v[6:7]
	v_mad_u64_u32 v[14:15], null, s8, v21, 0
	v_add_co_u32 v0, s0, v17, v0
	s_delay_alu instid0(VALU_DEP_1) | instskip(NEXT) | instid1(VALU_DEP_4)
	v_add_co_ci_u32_e64 v1, s0, v23, v1, s0
	v_mov_b32_e32 v11, v7
	v_mad_u64_u32 v[7:8], null, s8, v22, 0
	v_mov_b32_e32 v6, v15
	v_add_co_u32 v2, s0, v17, v2
	s_delay_alu instid0(VALU_DEP_1) | instskip(SKIP_1) | instid1(VALU_DEP_4)
	v_add_co_ci_u32_e64 v3, s0, v23, v3, s0
	v_add_co_u32 v4, s0, v17, v4
	v_mad_u64_u32 v[15:16], null, s9, v21, v[6:7]
	v_mov_b32_e32 v6, v8
	v_add_nc_u32_e32 v16, 0x13b, v19
	v_lshlrev_b64 v[10:11], 2, v[10:11]
	v_add_co_ci_u32_e64 v5, s0, v23, v5, s0
	s_delay_alu instid0(VALU_DEP_4) | instskip(NEXT) | instid1(VALU_DEP_4)
	v_mad_u64_u32 v[26:27], null, s9, v22, v[6:7]
	v_mad_u64_u32 v[27:28], null, s8, v16, 0
	v_mov_b32_e32 v6, v25
	v_add_nc_u32_e32 v22, 0x195, v19
	v_lshlrev_b64 v[14:15], 2, v[14:15]
	v_add_co_u32 v10, s0, v17, v10
	v_mov_b32_e32 v8, v26
	v_mad_u64_u32 v[25:26], null, s9, v29, v[6:7]
	v_mov_b32_e32 v6, v28
	v_mad_u64_u32 v[29:30], null, s8, v20, 0
	v_add_co_ci_u32_e64 v11, s0, v23, v11, s0
	s_delay_alu instid0(VALU_DEP_3)
	v_mad_u64_u32 v[31:32], null, s9, v16, v[6:7]
	v_lshlrev_b64 v[7:8], 2, v[7:8]
	v_mad_u64_u32 v[32:33], null, s8, v22, 0
	v_add_co_u32 v14, s0, v17, v14
	v_mov_b32_e32 v6, v30
	v_add_co_ci_u32_e64 v15, s0, v23, v15, s0
	v_add_co_u32 v34, s0, v17, v7
	v_mov_b32_e32 v28, v31
	s_delay_alu instid0(VALU_DEP_4) | instskip(SKIP_3) | instid1(VALU_DEP_1)
	v_mad_u64_u32 v[30:31], null, s9, v20, v[6:7]
	v_add_co_ci_u32_e64 v35, s0, v23, v8, s0
	v_lshlrev_b64 v[7:8], 2, v[24:25]
	v_mov_b32_e32 v6, v33
                                        ; implicit-def: $vgpr16
	v_mad_u64_u32 v[24:25], null, s9, v22, v[6:7]
	v_lshlrev_b64 v[25:26], 2, v[27:28]
	v_add_co_u32 v27, s0, v17, v7
	v_lshlrev_b64 v[6:7], 2, v[29:30]
	v_add_co_ci_u32_e64 v28, s0, v23, v8, s0
	v_mov_b32_e32 v33, v24
	v_add_co_u32 v24, s0, v17, v25
	s_delay_alu instid0(VALU_DEP_1) | instskip(NEXT) | instid1(VALU_DEP_3)
	v_add_co_ci_u32_e64 v25, s0, v23, v26, s0
	v_lshlrev_b64 v[29:30], 2, v[32:33]
	v_add_co_u32 v31, s0, v17, v6
	s_delay_alu instid0(VALU_DEP_1) | instskip(NEXT) | instid1(VALU_DEP_3)
	v_add_co_ci_u32_e64 v32, s0, v23, v7, s0
                                        ; implicit-def: $vgpr33
                                        ; implicit-def: $vgpr7
	v_add_co_u32 v29, s0, v17, v29
	s_delay_alu instid0(VALU_DEP_1)
	v_add_co_ci_u32_e64 v30, s0, v23, v30, s0
	s_clause 0x9
	global_load_b32 v22, v[0:1], off
	global_load_b32 v0, v[2:3], off
	;; [unrolled: 1-line block ×10, first 2 shown]
                                        ; implicit-def: $vgpr35
                                        ; implicit-def: $vgpr34
                                        ; implicit-def: $vgpr32
                                        ; implicit-def: $vgpr11
                                        ; implicit-def: $vgpr14
                                        ; implicit-def: $vgpr3
                                        ; implicit-def: $vgpr15
                                        ; implicit-def: $vgpr2
                                        ; implicit-def: $vgpr10
                                        ; implicit-def: $vgpr1
	v_cmpx_gt_u32_e32 15, v19
	s_cbranch_execz .LBB0_12
; %bb.11:
	v_add_nc_u32_e32 v31, 0x78, v19
	v_add_nc_u32_e32 v32, 0xa5, v19
	v_add_nc_u32_e32 v33, 0xd2, v19
	v_add_nc_u32_e32 v35, 0xff, v19
	v_add_nc_u32_e32 v43, 0x1b3, v19
	v_mad_u64_u32 v[14:15], null, s8, v31, 0
	v_add_nc_u32_e32 v26, 0x4b, v19
	v_mad_u64_u32 v[27:28], null, s8, v33, 0
	s_delay_alu instid0(VALU_DEP_3) | instskip(NEXT) | instid1(VALU_DEP_3)
	v_dual_mov_b32 v7, v15 :: v_dual_add_nc_u32 v42, 0x159, v19
	v_mad_u64_u32 v[10:11], null, s8, v26, 0
	s_delay_alu instid0(VALU_DEP_1) | instskip(NEXT) | instid1(VALU_DEP_1)
	v_dual_mov_b32 v3, v11 :: v_dual_add_nc_u32 v24, 30, v19
	v_mad_u64_u32 v[1:2], null, s8, v24, 0
	s_delay_alu instid0(VALU_DEP_1) | instskip(SKIP_3) | instid1(VALU_DEP_3)
	v_mad_u64_u32 v[15:16], null, s9, v24, v[2:3]
	s_waitcnt vmcnt(1)
	v_mad_u64_u32 v[24:25], null, s9, v26, v[3:4]
	v_mad_u64_u32 v[25:26], null, s8, v32, 0
	v_mov_b32_e32 v2, v15
	v_mad_u64_u32 v[29:30], null, s9, v31, v[7:8]
	s_delay_alu instid0(VALU_DEP_4) | instskip(NEXT) | instid1(VALU_DEP_4)
	v_mov_b32_e32 v11, v24
	v_mov_b32_e32 v3, v26
	s_delay_alu instid0(VALU_DEP_4)
	v_lshlrev_b64 v[1:2], 2, v[1:2]
	v_mov_b32_e32 v7, v28
	v_add_nc_u32_e32 v31, 0x12c, v19
	v_lshlrev_b64 v[10:11], 2, v[10:11]
	v_mov_b32_e32 v15, v29
	v_mad_u64_u32 v[28:29], null, s9, v32, v[3:4]
	v_add_co_u32 v1, s0, v17, v1
	s_delay_alu instid0(VALU_DEP_3) | instskip(SKIP_2) | instid1(VALU_DEP_1)
	v_lshlrev_b64 v[15:16], 2, v[14:15]
	v_add_co_ci_u32_e64 v2, s0, v23, v2, s0
	v_add_co_u32 v29, s0, v17, v10
	v_add_co_ci_u32_e64 v30, s0, v23, v11, s0
	v_mov_b32_e32 v26, v28
	v_mad_u64_u32 v[10:11], null, s9, v33, v[7:8]
	global_load_b32 v14, v[1:2], off
	v_add_co_u32 v1, s0, v17, v15
	s_delay_alu instid0(VALU_DEP_1)
	v_add_co_ci_u32_e64 v2, s0, v23, v16, s0
	v_mad_u64_u32 v[15:16], null, s8, v31, 0
	v_mov_b32_e32 v28, v10
	global_load_b32 v41, v[1:2], off
	v_lshlrev_b64 v[1:2], 2, v[25:26]
	v_mad_u64_u32 v[24:25], null, s8, v35, 0
	v_lshlrev_b64 v[10:11], 2, v[27:28]
	v_dual_mov_b32 v3, v16 :: v_dual_add_nc_u32 v28, 0x186, v19
	s_delay_alu instid0(VALU_DEP_4) | instskip(NEXT) | instid1(VALU_DEP_1)
	v_add_co_u32 v1, s0, v17, v1
	v_add_co_ci_u32_e64 v2, s0, v23, v2, s0
	v_mov_b32_e32 v7, v25
	s_delay_alu instid0(VALU_DEP_4) | instskip(SKIP_2) | instid1(VALU_DEP_4)
	v_mad_u64_u32 v[25:26], null, s9, v31, v[3:4]
	v_mad_u64_u32 v[26:27], null, s8, v28, 0
	;; [unrolled: 1-line block ×4, first 2 shown]
	v_add_co_u32 v10, s0, v17, v10
	s_delay_alu instid0(VALU_DEP_4) | instskip(SKIP_2) | instid1(VALU_DEP_3)
	v_mov_b32_e32 v3, v27
	v_add_co_ci_u32_e64 v11, s0, v23, v11, s0
	v_dual_mov_b32 v16, v25 :: v_dual_mov_b32 v27, v32
	v_mad_u64_u32 v[34:35], null, s9, v28, v[3:4]
	v_mad_u64_u32 v[35:36], null, s8, v43, 0
	global_load_b32 v7, v[10:11], off
	v_lshlrev_b64 v[10:11], 2, v[15:16]
	v_mad_u64_u32 v[15:16], null, s9, v42, v[27:28]
	v_mov_b32_e32 v25, v33
	v_mov_b32_e32 v27, v34
	;; [unrolled: 1-line block ×3, first 2 shown]
	v_add_co_u32 v10, s0, v17, v10
	s_delay_alu instid0(VALU_DEP_4) | instskip(SKIP_1) | instid1(VALU_DEP_4)
	v_lshlrev_b64 v[24:25], 2, v[24:25]
	v_add_co_ci_u32_e64 v11, s0, v23, v11, s0
	v_mad_u64_u32 v[33:34], null, s9, v43, v[3:4]
	v_mov_b32_e32 v32, v15
	v_lshlrev_b64 v[26:27], 2, v[26:27]
	v_add_co_u32 v24, s0, v17, v24
	global_load_b32 v15, v[10:11], off
	v_lshlrev_b64 v[10:11], 2, v[31:32]
	v_mov_b32_e32 v36, v33
	v_add_co_ci_u32_e64 v25, s0, v23, v25, s0
	v_add_co_u32 v26, s0, v17, v26
	s_delay_alu instid0(VALU_DEP_3) | instskip(SKIP_2) | instid1(VALU_DEP_1)
	v_lshlrev_b64 v[31:32], 2, v[35:36]
	v_add_co_ci_u32_e64 v27, s0, v23, v27, s0
	v_add_co_u32 v33, s0, v17, v10
	v_add_co_ci_u32_e64 v34, s0, v23, v11, s0
	s_delay_alu instid0(VALU_DEP_4)
	v_add_co_u32 v16, s0, v17, v31
	global_load_b32 v10, v[26:27], off
	v_add_co_ci_u32_e64 v17, s0, v23, v32, s0
	s_clause 0x4
	global_load_b32 v33, v[33:34], off
	global_load_b32 v34, v[24:25], off
	;; [unrolled: 1-line block ×5, first 2 shown]
	s_waitcnt vmcnt(8)
	v_lshrrev_b32_e32 v16, 16, v41
	v_alignbit_b32 v11, v41, v14, 16
	s_waitcnt vmcnt(7)
	v_lshrrev_b32_e32 v3, 16, v7
	s_waitcnt vmcnt(6)
	v_lshrrev_b32_e32 v2, 16, v15
	;; [unrolled: 2-line block ×3, first 2 shown]
.LBB0_12:
	s_or_b32 exec_lo, exec_lo, s2
	s_waitcnt vmcnt(9)
	v_lshrrev_b32_e32 v17, 16, v22
	s_waitcnt vmcnt(8)
	v_lshrrev_b32_e32 v31, 16, v0
	;; [unrolled: 2-line block ×10, first 2 shown]
.LBB0_13:
	s_or_b32 exec_lo, exec_lo, s1
	v_add_f16_e32 v41, v5, v6
	v_add_f16_e32 v42, v8, v22
	v_sub_f16_e32 v46, v4, v5
	v_add_f16_e32 v47, v4, v8
	v_sub_f16_e32 v43, v28, v25
	v_fma_f16 v45, -0.5, v41, v22
	v_sub_f16_e32 v41, v8, v6
	v_add_f16_e32 v42, v6, v42
	v_sub_f16_e32 v44, v27, v26
	v_fmac_f16_e32 v22, -0.5, v47
	v_fmamk_f16 v48, v43, 0xbb9c, v45
	v_add_f16_e32 v46, v46, v41
	v_add_f16_e32 v41, v5, v42
	v_sub_f16_e32 v49, v6, v8
	v_fmac_f16_e32 v45, 0x3b9c, v43
	v_fmamk_f16 v51, v44, 0x3b9c, v22
	v_fmac_f16_e32 v22, 0xbb9c, v44
	v_add_f16_e32 v52, v4, v41
	v_sub_f16_e32 v41, v5, v4
	v_add_f16_e32 v42, v37, v38
	v_fmac_f16_e32 v48, 0xb8b4, v44
	v_fmac_f16_e32 v45, 0x38b4, v44
	;; [unrolled: 1-line block ×3, first 2 shown]
	v_add_f16_e32 v44, v41, v49
	v_fmac_f16_e32 v22, 0x38b4, v43
	v_fma_f16 v41, -0.5, v42, v0
	v_sub_f16_e32 v49, v30, v23
	v_fmac_f16_e32 v48, 0x34f2, v46
	v_add_f16_e32 v43, v40, v0
	v_fmac_f16_e32 v45, 0x34f2, v46
	v_fmac_f16_e32 v51, 0x34f2, v44
	;; [unrolled: 1-line block ×3, first 2 shown]
	v_fmamk_f16 v42, v49, 0xbb9c, v41
	v_sub_f16_e32 v44, v29, v24
	v_sub_f16_e32 v46, v40, v38
	;; [unrolled: 1-line block ×3, first 2 shown]
	v_fmac_f16_e32 v41, 0x3b9c, v49
	v_add_f16_e32 v43, v38, v43
	v_fmac_f16_e32 v42, 0xb8b4, v44
	v_add_f16_e32 v54, v23, v30
	v_add_f16_e32 v46, v47, v46
	v_fmac_f16_e32 v41, 0x38b4, v44
	v_add_f16_e32 v43, v37, v43
	v_add_f16_e32 v50, v39, v40
	;; [unrolled: 1-line block ×3, first 2 shown]
	v_fmac_f16_e32 v42, 0x34f2, v46
	v_fmac_f16_e32 v41, 0x34f2, v46
	v_sub_f16_e32 v46, v40, v39
	v_sub_f16_e32 v40, v38, v40
	;; [unrolled: 1-line block ×6, first 2 shown]
	v_fma_f16 v37, -0.5, v54, v31
	v_fmac_f16_e32 v0, -0.5, v50
	v_fma_f16 v47, -0.5, v47, v31
	v_add_f16_e32 v40, v53, v40
	v_add_f16_e32 v53, v56, v38
	v_fmamk_f16 v38, v55, 0xbb9c, v37
	v_sub_f16_e32 v54, v29, v30
	v_sub_f16_e32 v56, v24, v23
	v_fmac_f16_e32 v37, 0x3b9c, v55
	v_add_f16_e32 v43, v39, v43
	v_fmamk_f16 v50, v44, 0x3b9c, v0
	v_fmamk_f16 v39, v46, 0x3b9c, v47
	v_fmac_f16_e32 v0, 0xbb9c, v44
	v_fmac_f16_e32 v38, 0x38b4, v46
	v_add_f16_e32 v44, v56, v54
	v_fmac_f16_e32 v37, 0xb8b4, v46
	v_fmac_f16_e32 v39, 0x38b4, v55
	;; [unrolled: 1-line block ×3, first 2 shown]
	v_pk_add_f16 v46, v32, v33 neg_lo:[0,1] neg_hi:[0,1]
	v_fmac_f16_e32 v38, 0x34f2, v44
	v_fmac_f16_e32 v37, 0x34f2, v44
	v_pk_add_f16 v44, v35, v34 neg_lo:[0,1] neg_hi:[0,1]
	v_fmac_f16_e32 v39, 0x34f2, v53
	v_fmac_f16_e32 v0, 0x38b4, v49
	;; [unrolled: 1-line block ×3, first 2 shown]
	v_pk_add_f16 v55, v34, v33 neg_lo:[0,1] neg_hi:[0,1]
	v_pk_add_f16 v44, v46, v44
	v_add_f16_e32 v46, v33, v34
	v_pk_add_f16 v56, v35, v32 neg_lo:[0,1] neg_hi:[0,1]
	v_fmac_f16_e32 v50, 0xb8b4, v49
	v_mul_f16_e32 v49, 0xb8b4, v39
	v_fmac_f16_e32 v0, 0x34f2, v40
	v_fmac_f16_e32 v47, 0x34f2, v53
	v_mul_f16_e32 v53, 0xbb9c, v37
	v_bfi_b32 v44, 0xffff, v44, v55
	v_fma_f16 v62, -0.5, v46, v36
	v_lshrrev_b32_e32 v46, 16, v56
	v_fmac_f16_e32 v49, 0x3a79, v42
	v_add_f16_e32 v57, v43, v52
	v_mul_f16_e32 v54, 0xb8b4, v47
	v_fmac_f16_e32 v53, 0xb4f2, v0
	v_pk_mul_f16 v63, 0x38b434f2, v44
	v_sub_f16_e32 v64, v52, v43
	v_fmamk_f16 v43, v46, 0xbb9c, v62
	v_fmac_f16_e32 v62, 0x3b9c, v46
	v_lshrrev_b32_e32 v46, 16, v34
	v_lshrrev_b32_e32 v44, 16, v33
	v_fmac_f16_e32 v50, 0x34f2, v40
	v_mul_f16_e32 v40, 0xbb9c, v38
	v_add_f16_e32 v58, v48, v49
	v_fmac_f16_e32 v54, 0xba79, v41
	v_add_f16_e32 v60, v22, v53
	v_sub_f16_e32 v65, v48, v49
	v_lshrrev_b32_e32 v48, 16, v63
	v_sub_f16_e32 v22, v22, v53
	v_lshrrev_b32_e32 v53, 16, v36
	v_add_f16_e32 v49, v44, v46
	v_pk_add_f16 v52, v32, v35
	v_fmac_f16_e32 v40, 0x34f2, v50
	v_add_f16_e32 v61, v45, v54
	v_sub_f16_e32 v43, v43, v48
	v_add_f16_e32 v48, v48, v62
	v_sub_f16_e32 v62, v45, v54
	v_fma_f16 v49, -0.5, v49, v53
	v_lshrrev_b32_e32 v54, 16, v35
	v_lshrrev_b32_e32 v45, 16, v32
	v_pk_fma_f16 v52, v52, -0.5, v36 op_sel_hi:[1,0,1]
	v_pk_mul_f16 v67, 0x3b9c, v55 op_sel_hi:[0,1]
	v_and_b32_e32 v9, 3, v9
	v_add_f16_e32 v59, v51, v40
	v_sub_f16_e32 v40, v51, v40
	v_add_f16_e32 v51, v63, v43
	v_add_f16_e32 v43, v63, v48
	v_pk_add_f16 v63, v34, v35 neg_lo:[0,1] neg_hi:[0,1]
	v_pk_add_f16 v66, v33, v32 neg_lo:[0,1] neg_hi:[0,1]
	v_fmamk_f16 v48, v56, 0x3b9c, v49
	v_sub_f16_e32 v68, v54, v46
	v_sub_f16_e32 v69, v45, v44
	v_fmac_f16_e32 v49, 0xbb9c, v56
	v_pk_add_f16 v70, v52, v67 op_sel:[0,1] op_sel_hi:[1,0] neg_lo:[0,1] neg_hi:[0,1]
	v_pk_mul_f16 v56, 0x38b4, v56 op_sel_hi:[0,1]
	v_pk_add_f16 v52, v67, v52 op_sel:[1,0] op_sel_hi:[0,1]
	v_mul_u32_u24_e32 v67, 10, v19
	v_mul_u32_u24_e32 v9, 0x1c2, v9
	v_fmac_f16_e32 v48, 0x38b4, v55
	v_add_f16_e32 v68, v69, v68
	v_fmac_f16_e32 v49, 0xb8b4, v55
	v_pk_add_f16 v55, v56, v70 op_sel:[1,0] op_sel_hi:[0,1]
	v_pk_add_f16 v63, v66, v63
	v_pk_add_f16 v56, v52, v56 op_sel:[0,1] op_sel_hi:[1,0] neg_lo:[0,1] neg_hi:[0,1]
	v_lshl_add_u32 v66, v67, 1, 0
	v_fmac_f16_e32 v48, 0x34f2, v68
	v_fmac_f16_e32 v49, 0x34f2, v68
	v_pk_fma_f16 v52, 0x34f2, v63, v55 op_sel_hi:[0,1,1]
	v_pk_fma_f16 v55, 0x34f2, v63, v56 op_sel_hi:[0,1,1]
	v_lshl_add_u32 v56, v9, 1, v66
	v_pack_b32_f16 v59, v59, v60
	v_pack_b32_f16 v57, v57, v58
	v_cmp_gt_u32_e64 s0, 15, v19
	v_pack_b32_f16 v40, v65, v40
	v_pack_b32_f16 v58, v61, v64
	;; [unrolled: 1-line block ×3, first 2 shown]
	ds_store_2addr_b32 v56, v57, v59 offset1:1
	ds_store_2addr_b32 v56, v58, v40 offset0:2 offset1:3
	ds_store_b32 v56, v22 offset:16
	s_and_saveexec_b32 s1, s0
	s_cbranch_execz .LBB0_15
; %bb.14:
	v_lshrrev_b32_e32 v40, 16, v11
	v_add_f16_e32 v22, v15, v7
	v_sub_f16_e32 v57, v10, v15
	v_sub_f16_e32 v58, v16, v1
	;; [unrolled: 1-line block ×3, first 2 shown]
	v_add_f16_e32 v60, v10, v40
	v_fma_f16 v22, -0.5, v22, v14
	v_sub_f16_e32 v63, v40, v7
	v_add_f16_e32 v35, v35, v36
	v_sub_f16_e32 v62, v15, v10
	v_fma_f16 v60, -0.5, v60, v14
	v_add_f16_e32 v14, v40, v14
	v_fmamk_f16 v64, v58, 0x3b9c, v22
	v_lshrrev_b32_e32 v65, 16, v55
	v_sub_f16_e32 v66, v7, v40
	v_add_f16_e32 v57, v57, v63
	v_fmamk_f16 v63, v59, 0xbb9c, v60
	v_fmac_f16_e32 v60, 0x3b9c, v59
	v_lshrrev_b32_e32 v67, 16, v52
	v_fmac_f16_e32 v22, 0xbb9c, v58
	v_add_f16_e32 v14, v7, v14
	v_add_f16_e32 v34, v34, v35
	;; [unrolled: 1-line block ×3, first 2 shown]
	v_fmac_f16_e32 v63, 0x38b4, v58
	v_mul_f16_e32 v65, 0xbb9c, v65
	v_fmac_f16_e32 v60, 0xb8b4, v58
	v_mul_f16_e32 v36, 0xbb9c, v67
	;; [unrolled: 2-line block ×3, first 2 shown]
	v_add_f16_e32 v14, v15, v14
	v_add_f16_e32 v33, v33, v34
	v_mul_f16_e32 v61, 0xb8b4, v49
	v_fmac_f16_e32 v64, 0x38b4, v59
	v_fmac_f16_e32 v63, 0x34f2, v62
	;; [unrolled: 1-line block ×7, first 2 shown]
	v_add_f16_e32 v14, v10, v14
	v_add_f16_e32 v32, v32, v33
	v_fmac_f16_e32 v61, 0xba79, v43
	v_fmac_f16_e32 v64, 0x34f2, v57
	v_sub_f16_e32 v34, v60, v36
	v_sub_f16_e32 v33, v22, v35
	v_add_f16_e32 v40, v63, v65
	v_add_f16_e32 v36, v60, v36
	v_add_f16_e32 v22, v22, v35
	v_add_f16_e32 v35, v32, v14
	v_sub_f16_e32 v14, v14, v32
	v_add_f16_e32 v32, v64, v61
	v_sub_f16_e32 v66, v64, v61
	v_sub_f16_e32 v57, v63, v65
	v_pack_b32_f16 v36, v36, v40
	v_pack_b32_f16 v22, v35, v22
	;; [unrolled: 1-line block ×5, first 2 shown]
	ds_store_2addr_b32 v56, v22, v36 offset0:150 offset1:151
	ds_store_2addr_b32 v56, v14, v33 offset0:152 offset1:153
	ds_store_b32 v56, v32 offset:616
.LBB0_15:
	s_or_b32 exec_lo, exec_lo, s1
	v_add_f16_e32 v14, v26, v27
	v_add_f16_e32 v22, v28, v17
	v_sub_f16_e32 v4, v8, v4
	v_sub_f16_e32 v5, v6, v5
	;; [unrolled: 1-line block ×3, first 2 shown]
	v_fma_f16 v8, -0.5, v14, v17
	v_sub_f16_e32 v14, v25, v26
	v_add_f16_e32 v32, v25, v28
	v_add_f16_e32 v22, v27, v22
	;; [unrolled: 1-line block ×3, first 2 shown]
	v_fmamk_f16 v57, v4, 0x3b9c, v8
	v_add_f16_e32 v6, v14, v6
	v_fmac_f16_e32 v17, -0.5, v32
	v_add_f16_e32 v14, v26, v22
	v_fmac_f16_e32 v8, 0xbb9c, v4
	v_add_f16_e32 v22, v29, v30
	v_fmac_f16_e32 v57, 0x38b4, v5
	v_fmamk_f16 v58, v5, 0xbb9c, v17
	v_add_f16_e32 v59, v25, v14
	v_sub_f16_e32 v14, v27, v28
	v_sub_f16_e32 v25, v26, v25
	v_fmac_f16_e32 v17, 0x3b9c, v5
	v_fmac_f16_e32 v58, 0x38b4, v4
	;; [unrolled: 1-line block ×3, first 2 shown]
	v_add_f16_e32 v5, v24, v22
	v_add_f16_e32 v14, v25, v14
	v_fmac_f16_e32 v17, 0xb8b4, v4
	v_mul_f16_e32 v22, 0x34f2, v37
	v_lshlrev_b32_e32 v27, 1, v9
	v_add_f16_e32 v4, v23, v5
	v_fmac_f16_e32 v58, 0x34f2, v14
	v_fmac_f16_e32 v17, 0x34f2, v14
	v_lshlrev_b32_e32 v14, 1, v19
	v_mul_f16_e32 v23, 0x3a79, v47
	v_mul_f16_e32 v24, 0x38b4, v42
	v_mul_f16_e32 v5, 0x3b9c, v50
	v_fma_f16 v0, v0, 0x3b9c, -v22
	v_add_nc_u32_e32 v9, 0, v14
	v_add3_u32 v22, 0, v27, v14
	v_fma_f16 v47, v41, 0x38b4, -v23
	v_fmac_f16_e32 v24, 0x3a79, v39
	v_fmac_f16_e32 v5, 0x34f2, v38
	v_add_nc_u32_e32 v23, v9, v27
	s_waitcnt lgkmcnt(0)
	s_barrier
	buffer_gl0_inv
	ds_load_u16 v28, v22
	ds_load_u16 v29, v23 offset:60
	ds_load_u16 v36, v23 offset:240
	;; [unrolled: 1-line block ×14, first 2 shown]
	v_fmac_f16_e32 v57, 0x34f2, v6
	v_fmac_f16_e32 v8, 0x34f2, v6
	v_add_f16_e32 v6, v4, v59
	v_add_f16_e32 v26, v58, v5
	v_add_f16_e32 v9, v17, v0
	v_add_f16_e32 v25, v57, v24
	v_add_f16_e32 v50, v8, v47
	v_sub_f16_e32 v4, v59, v4
	v_sub_f16_e32 v57, v57, v24
	;; [unrolled: 1-line block ×5, first 2 shown]
	v_add_nc_u32_e32 v24, 30, v19
	v_pack_b32_f16 v9, v26, v9
	v_pack_b32_f16 v6, v6, v25
	v_pack_b32_f16 v5, v57, v5
	v_pack_b32_f16 v4, v50, v4
	v_pack_b32_f16 v0, v0, v8
	s_waitcnt lgkmcnt(0)
	s_barrier
	buffer_gl0_inv
	ds_store_2addr_b32 v56, v6, v9 offset1:1
	ds_store_2addr_b32 v56, v4, v5 offset0:2 offset1:3
	ds_store_b32 v56, v0 offset:16
	s_and_saveexec_b32 s1, s0
	s_cbranch_execz .LBB0_17
; %bb.16:
	v_add_f16_e32 v0, v1, v16
	v_add_f16_e32 v4, v16, v11
	;; [unrolled: 1-line block ×3, first 2 shown]
	v_sub_f16_e32 v6, v7, v15
	v_sub_f16_e32 v7, v16, v3
	v_mul_f16_e32 v0, 0.5, v0
	v_sub_f16_e32 v8, v1, v2
	v_sub_f16_e32 v9, v3, v16
	;; [unrolled: 1-line block ×3, first 2 shown]
	v_add_f16_e32 v16, v54, v53
	v_perm_b32 v0, v10, v0, 0x5040100
	v_add_f16_e32 v3, v3, v4
	v_fma_f16 v4, -0.5, v5, v11
	v_add_f16_e32 v5, v8, v7
	v_mul_f16_e32 v7, 0x3b9c, v6
	v_pk_add_f16 v0, v11, v0 neg_lo:[0,1] neg_hi:[0,1]
	v_add_f16_e32 v8, v15, v9
	v_add_f16_e32 v11, v46, v16
	v_add_f16_e32 v2, v2, v3
	v_pack_b32_f16 v7, v7, 0x38b4
	v_bfi_b32 v9, 0xffff, v6, v0
	v_fmamk_f16 v6, v6, 0xbb9c, v0
	v_pk_mul_f16 v16, 0x38b40000, v0
	v_pk_mul_f16 v17, 0x34f23b9c, v55
	v_pk_add_f16 v26, v0, v7
	v_pk_mul_f16 v9, 0x3b9c38b4, v9
	v_mul_f16_e32 v10, 0x38b4, v51
	v_alignbit_b32 v6, v6, v16, 16
	v_alignbit_b32 v16, s0, v16, 16
	v_pk_fma_f16 v15, 0x34f23b9c, v52, v17 op_sel:[0,0,1] op_sel_hi:[1,1,0]
	v_lshrrev_b32_e32 v3, 16, v9
	v_pk_fma_f16 v17, 0x34f23b9c, v52, v17 op_sel:[0,0,1] op_sel_hi:[1,1,0] neg_lo:[0,0,1] neg_hi:[0,0,1]
	v_pk_fma_f16 v0, v0, v7, v6
	v_pk_add_f16 v6, v26, v16 neg_lo:[0,1] neg_hi:[0,1]
	v_mul_f16_e32 v8, 0x34f2, v8
	v_add_f16_e32 v46, v3, v4
	v_sub_f16_e32 v3, v4, v3
	v_add_f16_e32 v11, v44, v11
	v_bfi_b32 v0, 0xffff, v6, v0
	v_mul_f16_e32 v25, 0x3a79, v49
	v_add_f16_e32 v4, v9, v46
	v_sub_f16_e32 v3, v3, v9
	v_fmac_f16_e32 v10, 0x3a79, v48
	v_add_f16_e32 v1, v1, v2
	v_add_f16_e32 v2, v45, v11
	v_fmac_f16_e32 v4, 0x34f2, v5
	v_bfi_b32 v6, 0xffff, v17, v15
	v_pk_add_f16 v0, v8, v0 op_sel_hi:[0,1]
	v_mul_u32_u24_e32 v9, 10, v24
	v_fmac_f16_e32 v3, 0x34f2, v5
	v_fma_f16 v8, v43, 0x38b4, -v25
	v_add_f16_e32 v7, v2, v1
	v_add_f16_e32 v5, v4, v10
	v_bfi_b32 v4, 0xffff, v4, v0
	v_bfi_b32 v10, 0xffff, v10, v15
	v_pk_add_f16 v6, v0, v6
	v_lshlrev_b32_e32 v9, 1, v9
	v_add_f16_e32 v11, v3, v8
	v_sub_f16_e32 v1, v1, v2
	v_pack_b32_f16 v0, v0, v3
	v_pack_b32_f16 v3, v17, v8
	v_pk_add_f16 v2, v4, v10 neg_lo:[0,1] neg_hi:[0,1]
	v_add3_u32 v4, 0, v9, v27
	v_alignbit_b32 v6, v6, v6, 16
	v_pack_b32_f16 v5, v7, v5
	v_pack_b32_f16 v1, v11, v1
	v_pk_add_f16 v0, v0, v3 neg_lo:[0,1] neg_hi:[0,1]
	ds_store_2addr_b32 v4, v5, v6 offset1:1
	ds_store_2addr_b32 v4, v1, v2 offset0:2 offset1:3
	ds_store_b32 v4, v0 offset:16
.LBB0_17:
	s_or_b32 exec_lo, exec_lo, s1
	v_dual_mov_b32 v15, 0 :: v_dual_and_b32 v0, 0xff, v19
	v_and_b32_e32 v1, 0xff, v24
	v_and_b32_e32 v54, 0xff, v18
	v_add_nc_u32_e32 v25, 60, v19
	s_delay_alu instid0(VALU_DEP_4)
	v_mul_lo_u16 v0, 0xcd, v0
	s_waitcnt lgkmcnt(0)
	s_barrier
	v_mul_lo_u16 v68, v54, 41
	v_mov_b32_e32 v54, v15
	v_mul_lo_u16 v1, 0xcd, v1
	v_lshrrev_b16 v57, 11, v0
	v_and_b32_e32 v2, 0xff, v25
	buffer_gl0_inv
	v_add_nc_u32_e32 v26, 0x78, v19
	v_lshrrev_b16 v58, 11, v1
	v_mul_lo_u16 v0, v57, 10
	v_subrev_nc_u32_e32 v53, 20, v19
	v_cmp_gt_u32_e64 s0, 20, v19
	v_lshlrev_b64 v[16:17], 2, v[14:15]
	v_mul_lo_u16 v1, v58, 10
	v_sub_nc_u16 v0, v19, v0
	v_add_nc_u32_e32 v14, 20, v14
	v_and_b32_e32 v69, 0xff, v26
	v_cndmask_b32_e64 v53, v53, v24, s0
	v_sub_nc_u16 v1, v24, v1
	v_and_b32_e32 v59, 0xff, v0
	v_mul_lo_u16 v0, 0xcd, v2
	v_lshlrev_b64 v[55:56], 2, v[14:15]
	v_lshrrev_b16 v14, 11, v68
	v_and_b32_e32 v60, 0xff, v1
	v_lshlrev_b32_e32 v1, 4, v59
	v_lshrrev_b16 v61, 11, v0
	v_mul_lo_u16 v68, v69, 41
	v_lshlrev_b32_e32 v53, 1, v53
	v_lshlrev_b32_e32 v0, 4, v60
	global_load_b128 v[8:11], v1, s[4:5]
	v_and_b32_e32 v69, 0xffff, v57
	v_and_b32_e32 v70, 0xffff, v58
	v_mul_lo_u16 v71, v14, 50
	global_load_b128 v[4:7], v0, s[4:5]
	v_mul_lo_u16 v1, v61, 10
	v_lshrrev_b16 v68, 11, v68
	v_and_b32_e32 v61, 0xffff, v61
	v_add_co_u32 v16, s0, s4, v16
	s_delay_alu instid0(VALU_DEP_4) | instskip(SKIP_3) | instid1(VALU_DEP_4)
	v_sub_nc_u16 v0, v25, v1
	v_lshlrev_b64 v[57:58], 2, v[53:54]
	v_add_co_ci_u32_e64 v17, s0, s5, v17, s0
	v_add_co_u32 v54, s0, s4, v55
	v_and_b32_e32 v62, 0xff, v0
	v_mad_u32_u24 v69, 0x64, v69, 0
	v_mad_u32_u24 v70, 0x64, v70, 0
	v_sub_nc_u16 v71, v18, v71
	v_mul_lo_u16 v68, v68, 50
	v_lshlrev_b32_e32 v0, 4, v62
	v_lshlrev_b32_e32 v59, 1, v59
	v_mad_u32_u24 v61, 0x64, v61, 0
	v_lshlrev_b32_e32 v60, 1, v60
	v_lshlrev_b32_e32 v62, 1, v62
	global_load_b128 v[0:3], v0, s[4:5]
	ds_load_u16 v51, v23 offset:240
	ds_load_u16 v50, v23 offset:420
	ds_load_u16 v49, v23 offset:600
	ds_load_u16 v45, v22
	ds_load_u16 v44, v23 offset:60
	ds_load_u16 v63, v23 offset:360
	;; [unrolled: 1-line block ×11, first 2 shown]
	v_add_co_ci_u32_e64 v55, s0, s5, v56, s0
	v_add_co_u32 v56, s0, s4, v57
	s_delay_alu instid0(VALU_DEP_1)
	v_add_co_ci_u32_e64 v57, s0, s5, v58, s0
	v_sub_nc_u16 v58, v26, v68
	v_and_b32_e32 v68, 0xff, v71
	v_add3_u32 v59, v69, v59, v27
	v_add3_u32 v60, v70, v60, v27
	;; [unrolled: 1-line block ×3, first 2 shown]
	v_and_b32_e32 v58, 0xff, v58
	s_waitcnt vmcnt(0) lgkmcnt(0)
	s_barrier
	buffer_gl0_inv
	v_cmp_lt_u32_e64 s0, 19, v19
	v_and_b32_e32 v14, 0xffff, v14
	s_delay_alu instid0(VALU_DEP_1)
	v_mad_u32_u24 v14, 0x12c, v14, 0
	v_lshrrev_b32_e32 v62, 16, v8
	v_lshrrev_b32_e32 v69, 16, v9
	;; [unrolled: 1-line block ×8, first 2 shown]
	v_mul_f16_e32 v76, v64, v62
	v_mul_f16_e32 v62, v40, v62
	;; [unrolled: 1-line block ×16, first 2 shown]
	v_fmac_f16_e32 v76, v40, v8
	v_fma_f16 v8, v64, v8, -v62
	v_lshrrev_b32_e32 v84, 16, v0
	v_lshrrev_b32_e32 v85, 16, v1
	;; [unrolled: 1-line block ×4, first 2 shown]
	v_fmac_f16_e32 v77, v39, v9
	v_fma_f16 v9, v63, v9, -v69
	v_fmac_f16_e32 v78, v42, v10
	v_fma_f16 v10, v66, v10, -v70
	;; [unrolled: 2-line block ×3, first 2 shown]
	v_fmac_f16_e32 v80, v36, v4
	v_fmac_f16_e32 v81, v35, v5
	;; [unrolled: 1-line block ×4, first 2 shown]
	v_mul_f16_e32 v35, v47, v84
	v_mul_f16_e32 v36, v31, v84
	;; [unrolled: 1-line block ×8, first 2 shown]
	v_fma_f16 v4, v51, v4, -v72
	v_fma_f16 v5, v50, v5, -v73
	;; [unrolled: 1-line block ×4, first 2 shown]
	v_fmac_f16_e32 v35, v31, v0
	v_fma_f16 v0, v47, v0, -v36
	v_fmac_f16_e32 v37, v34, v1
	v_fma_f16 v1, v67, v1, -v38
	;; [unrolled: 2-line block ×4, first 2 shown]
	v_add_f16_e32 v31, v28, v76
	v_add_f16_e32 v32, v77, v78
	v_sub_f16_e32 v33, v8, v11
	v_sub_f16_e32 v36, v76, v77
	;; [unrolled: 1-line block ×3, first 2 shown]
	v_add_f16_e32 v40, v76, v79
	v_sub_f16_e32 v42, v77, v76
	v_sub_f16_e32 v46, v78, v79
	v_add_f16_e32 v47, v45, v8
	v_sub_f16_e32 v51, v8, v9
	v_sub_f16_e32 v52, v11, v10
	;; [unrolled: 3-line block ×4, first 2 shown]
	v_add_f16_e32 v48, v9, v10
	v_add_f16_e32 v65, v81, v82
	v_sub_f16_e32 v69, v80, v81
	v_sub_f16_e32 v70, v83, v82
	v_add_f16_e32 v71, v80, v83
	v_add_f16_e32 v74, v44, v4
	;; [unrolled: 1-line block ×4, first 2 shown]
	v_sub_f16_e32 v34, v9, v10
	v_add_f16_e32 v31, v31, v77
	v_fma_f16 v32, -0.5, v32, v28
	v_add_f16_e32 v36, v36, v38
	v_fmac_f16_e32 v28, -0.5, v40
	v_add_f16_e32 v38, v42, v46
	v_add_f16_e32 v42, v51, v52
	;; [unrolled: 1-line block ×8, first 2 shown]
	v_sub_f16_e32 v50, v77, v78
	v_sub_f16_e32 v66, v4, v7
	;; [unrolled: 1-line block ×6, first 2 shown]
	v_add_f16_e32 v9, v47, v9
	v_fma_f16 v40, -0.5, v48, v45
	v_fma_f16 v47, -0.5, v65, v29
	v_add_f16_e32 v48, v69, v70
	v_fmac_f16_e32 v29, -0.5, v71
	v_add_f16_e32 v5, v74, v5
	v_fma_f16 v52, -0.5, v75, v44
	v_fmac_f16_e32 v44, -0.5, v86
	v_sub_f16_e32 v70, v35, v37
	v_sub_f16_e32 v71, v41, v39
	v_add_f16_e32 v75, v43, v0
	v_add_f16_e32 v77, v1, v2
	;; [unrolled: 1-line block ×3, first 2 shown]
	v_sub_f16_e32 v49, v76, v79
	v_fmac_f16_e32 v45, -0.5, v62
	v_sub_f16_e32 v76, v80, v83
	v_sub_f16_e32 v80, v81, v82
	;; [unrolled: 1-line block ×6, first 2 shown]
	v_add_f16_e32 v31, v31, v78
	v_fmamk_f16 v78, v33, 0xbb9c, v32
	v_fmac_f16_e32 v32, 0x3b9c, v33
	v_fmamk_f16 v88, v34, 0x3b9c, v28
	v_fmac_f16_e32 v28, 0xbb9c, v34
	v_add_f16_e32 v37, v63, v37
	v_fma_f16 v63, -0.5, v64, v30
	v_fmac_f16_e32 v30, -0.5, v72
	v_sub_f16_e32 v87, v6, v7
	v_add_f16_e32 v62, v84, v85
	v_sub_f16_e32 v35, v35, v41
	v_sub_f16_e32 v84, v0, v1
	;; [unrolled: 1-line block ×3, first 2 shown]
	v_add_f16_e32 v5, v5, v6
	v_add_f16_e32 v64, v70, v71
	;; [unrolled: 1-line block ×3, first 2 shown]
	v_fma_f16 v71, -0.5, v77, v43
	v_fmac_f16_e32 v43, -0.5, v86
	v_add_f16_e32 v9, v9, v10
	v_fmamk_f16 v10, v49, 0x3b9c, v40
	v_fmamk_f16 v89, v50, 0xbb9c, v45
	v_fmac_f16_e32 v45, 0x3b9c, v50
	v_sub_f16_e32 v74, v39, v41
	v_fmac_f16_e32 v40, 0xbb9c, v49
	v_fmamk_f16 v90, v67, 0x3b9c, v29
	v_fmac_f16_e32 v29, 0xbb9c, v67
	v_fmamk_f16 v6, v76, 0x3b9c, v52
	v_fmac_f16_e32 v78, 0xb8b4, v34
	v_fmac_f16_e32 v32, 0x38b4, v34
	;; [unrolled: 1-line block ×4, first 2 shown]
	v_fmamk_f16 v33, v65, 0xbb9c, v63
	v_fmamk_f16 v34, v69, 0x3b9c, v30
	v_fmac_f16_e32 v30, 0xbb9c, v69
	v_add_f16_e32 v4, v4, v87
	v_sub_f16_e32 v85, v3, v2
	v_sub_f16_e32 v87, v2, v3
	v_add_f16_e32 v46, v46, v82
	v_fmamk_f16 v82, v66, 0xbb9c, v47
	v_fmac_f16_e32 v47, 0x3b9c, v66
	v_fmac_f16_e32 v52, 0xbb9c, v76
	v_fmamk_f16 v91, v80, 0xbb9c, v44
	v_fmac_f16_e32 v44, 0x3b9c, v80
	v_add_f16_e32 v5, v5, v7
	v_add_f16_e32 v7, v37, v39
	v_fmac_f16_e32 v63, 0x3b9c, v65
	v_add_f16_e32 v1, v1, v2
	v_fmamk_f16 v2, v35, 0x3b9c, v71
	v_fmac_f16_e32 v71, 0xbb9c, v35
	v_fmamk_f16 v37, v81, 0xbb9c, v43
	v_fmac_f16_e32 v43, 0x3b9c, v81
	v_fmac_f16_e32 v10, 0x38b4, v50
	;; [unrolled: 1-line block ×4, first 2 shown]
	v_add_f16_e32 v70, v73, v74
	v_fmac_f16_e32 v40, 0xb8b4, v50
	v_fmac_f16_e32 v29, 0x38b4, v66
	;; [unrolled: 1-line block ×6, first 2 shown]
	v_add_f16_e32 v72, v84, v85
	v_add_f16_e32 v0, v0, v87
	;; [unrolled: 1-line block ×4, first 2 shown]
	v_fmac_f16_e32 v82, 0xb8b4, v67
	v_fmac_f16_e32 v47, 0x38b4, v67
	;; [unrolled: 1-line block ×17, first 2 shown]
	v_add_f16_e32 v11, v46, v83
	v_fmac_f16_e32 v32, 0x34f2, v36
	v_fmac_f16_e32 v40, 0x34f2, v42
	;; [unrolled: 1-line block ×13, first 2 shown]
	v_add_f16_e32 v4, v7, v41
	v_add_f16_e32 v1, v1, v3
	v_fmac_f16_e32 v63, 0x34f2, v64
	v_fmac_f16_e32 v2, 0x34f2, v72
	;; [unrolled: 1-line block ×5, first 2 shown]
	ds_store_b16 v59, v31
	ds_store_b16 v59, v78 offset:20
	ds_store_b16 v59, v88 offset:40
	ds_store_b16 v59, v28 offset:60
	ds_store_b16 v59, v32 offset:80
	ds_store_b16 v60, v11
	ds_store_b16 v60, v82 offset:20
	ds_store_b16 v60, v90 offset:40
	ds_store_b16 v60, v29 offset:60
	ds_store_b16 v60, v47 offset:80
	;; [unrolled: 5-line block ×3, first 2 shown]
	s_waitcnt lgkmcnt(0)
	s_barrier
	buffer_gl0_inv
	ds_load_u16 v11, v23 offset:360
	ds_load_u16 v28, v23 offset:420
	ds_load_u16 v29, v22
	ds_load_u16 v30, v23 offset:60
	ds_load_u16 v31, v23 offset:120
	;; [unrolled: 1-line block ×12, first 2 shown]
	s_waitcnt lgkmcnt(0)
	s_barrier
	buffer_gl0_inv
	ds_store_b16 v59, v9
	ds_store_b16 v59, v10 offset:20
	ds_store_b16 v59, v89 offset:40
	ds_store_b16 v59, v45 offset:60
	ds_store_b16 v59, v40 offset:80
	ds_store_b16 v60, v5
	ds_store_b16 v60, v6 offset:20
	ds_store_b16 v60, v91 offset:40
	ds_store_b16 v60, v44 offset:60
	ds_store_b16 v60, v52 offset:80
	;; [unrolled: 5-line block ×3, first 2 shown]
	v_lshlrev_b32_e32 v6, 3, v68
	s_waitcnt lgkmcnt(0)
	s_barrier
	buffer_gl0_inv
	s_clause 0x1
	global_load_b64 v[0:1], v[16:17], off offset:160
	global_load_b64 v[2:3], v[56:57], off offset:160
	v_lshlrev_b32_e32 v8, 3, v58
	s_clause 0x2
	global_load_b64 v[4:5], v[54:55], off offset:160
	global_load_b64 v[6:7], v6, s[4:5] offset:160
	global_load_b64 v[8:9], v8, s[4:5] offset:160
	v_cndmask_b32_e64 v10, 0, 0x12c, s0
	v_lshlrev_b32_e32 v37, 1, v68
	v_lshlrev_b32_e32 v40, 1, v58
	s_delay_alu instid0(VALU_DEP_3) | instskip(NEXT) | instid1(VALU_DEP_3)
	v_add_nc_u32_e32 v10, 0, v10
	v_add3_u32 v14, v14, v37, v27
	s_delay_alu instid0(VALU_DEP_3) | instskip(NEXT) | instid1(VALU_DEP_3)
	v_add3_u32 v37, 0, v40, v27
	v_add3_u32 v43, v10, v53, v27
	ds_load_u16 v10, v23 offset:360
	ds_load_u16 v27, v23 offset:420
	ds_load_u16 v40, v22
	ds_load_u16 v44, v23 offset:60
	ds_load_u16 v45, v23 offset:120
	;; [unrolled: 1-line block ×12, first 2 shown]
	s_waitcnt vmcnt(0) lgkmcnt(0)
	s_barrier
	buffer_gl0_inv
	v_lshrrev_b32_e32 v57, 16, v0
	v_lshrrev_b32_e32 v58, 16, v1
	;; [unrolled: 1-line block ×10, first 2 shown]
	v_mul_f16_e32 v67, v49, v57
	v_mul_f16_e32 v68, v51, v58
	;; [unrolled: 1-line block ×14, first 2 shown]
	v_fmac_f16_e32 v67, v34, v0
	v_fmac_f16_e32 v68, v42, v1
	v_mul_f16_e32 v59, v11, v59
	v_mul_f16_e32 v60, v36, v60
	;; [unrolled: 1-line block ×6, first 2 shown]
	v_fmac_f16_e32 v69, v11, v2
	v_fmac_f16_e32 v70, v36, v3
	;; [unrolled: 1-line block ×8, first 2 shown]
	v_fma_f16 v0, v49, v0, -v57
	v_fma_f16 v1, v51, v1, -v58
	;; [unrolled: 1-line block ×4, first 2 shown]
	v_add_f16_e32 v11, v67, v68
	v_fma_f16 v2, v10, v2, -v59
	v_fma_f16 v3, v52, v3, -v60
	v_fma_f16 v6, v48, v6, -v63
	v_fma_f16 v7, v54, v7, -v64
	v_fma_f16 v8, v56, v8, -v65
	v_fma_f16 v9, v55, v9, -v66
	v_add_f16_e32 v36, v69, v70
	v_add_f16_e32 v46, v71, v72
	;; [unrolled: 1-line block ×5, first 2 shown]
	v_sub_f16_e32 v27, v0, v1
	v_sub_f16_e32 v48, v4, v5
	v_add_f16_e32 v49, v45, v4
	v_add_f16_e32 v4, v4, v5
	v_fmac_f16_e32 v29, -0.5, v11
	v_add_f16_e32 v28, v40, v0
	v_add_f16_e32 v0, v0, v1
	;; [unrolled: 1-line block ×3, first 2 shown]
	v_sub_f16_e32 v38, v2, v3
	v_add_f16_e32 v39, v44, v2
	v_add_f16_e32 v2, v2, v3
	;; [unrolled: 1-line block ×4, first 2 shown]
	v_sub_f16_e32 v54, v6, v7
	v_add_f16_e32 v55, v47, v6
	v_add_f16_e32 v6, v6, v7
	v_add_f16_e32 v57, v35, v75
	v_sub_f16_e32 v59, v8, v9
	v_add_f16_e32 v60, v50, v8
	v_add_f16_e32 v8, v8, v9
	v_fmac_f16_e32 v30, -0.5, v36
	v_fmac_f16_e32 v31, -0.5, v46
	;; [unrolled: 1-line block ×4, first 2 shown]
	v_add_f16_e32 v10, v10, v68
	v_fmac_f16_e32 v45, -0.5, v4
	v_fmamk_f16 v4, v27, 0xbaee, v29
	v_fmac_f16_e32 v29, 0x3aee, v27
	v_fmac_f16_e32 v40, -0.5, v0
	v_add_f16_e32 v0, v34, v70
	v_add_f16_e32 v62, v28, v1
	;; [unrolled: 1-line block ×3, first 2 shown]
	v_fmac_f16_e32 v44, -0.5, v2
	v_add_f16_e32 v1, v42, v72
	v_add_f16_e32 v36, v49, v5
	;; [unrolled: 1-line block ×4, first 2 shown]
	v_fmac_f16_e32 v47, -0.5, v6
	v_add_f16_e32 v3, v57, v76
	v_fmac_f16_e32 v50, -0.5, v8
	v_fmamk_f16 v5, v38, 0xbaee, v30
	v_fmamk_f16 v6, v48, 0xbaee, v31
	;; [unrolled: 1-line block ×4, first 2 shown]
	v_add_f16_e32 v42, v60, v9
	v_fmac_f16_e32 v30, 0x3aee, v38
	v_fmac_f16_e32 v31, 0x3aee, v48
	;; [unrolled: 1-line block ×4, first 2 shown]
	ds_store_b16 v23, v10
	ds_store_b16 v23, v4 offset:100
	ds_store_b16 v23, v29 offset:200
	ds_store_b16 v43, v0
	ds_store_b16 v43, v5 offset:100
	ds_store_b16 v43, v30 offset:200
	;; [unrolled: 1-line block ×5, first 2 shown]
	ds_store_b16 v14, v2
	ds_store_b16 v14, v7 offset:100
	ds_store_b16 v14, v32 offset:200
	;; [unrolled: 1-line block ×5, first 2 shown]
	s_waitcnt lgkmcnt(0)
	s_barrier
	buffer_gl0_inv
	ds_load_u16 v3, v23 offset:360
	ds_load_u16 v7, v23 offset:420
	ds_load_u16 v1, v22
	ds_load_u16 v0, v23 offset:60
	ds_load_u16 v2, v23 offset:120
	;; [unrolled: 1-line block ×12, first 2 shown]
	v_sub_f16_e32 v33, v67, v68
	v_sub_f16_e32 v41, v69, v70
	;; [unrolled: 1-line block ×5, first 2 shown]
	v_fmamk_f16 v46, v33, 0x3aee, v40
	v_fmac_f16_e32 v40, 0xbaee, v33
	v_fmamk_f16 v33, v41, 0x3aee, v44
	v_fmac_f16_e32 v44, 0xbaee, v41
	;; [unrolled: 2-line block ×5, first 2 shown]
	s_waitcnt lgkmcnt(0)
	s_barrier
	buffer_gl0_inv
	ds_store_b16 v23, v62
	ds_store_b16 v23, v46 offset:100
	ds_store_b16 v23, v40 offset:200
	ds_store_b16 v43, v34
	ds_store_b16 v43, v33 offset:100
	ds_store_b16 v43, v44 offset:200
	;; [unrolled: 1-line block ×5, first 2 shown]
	ds_store_b16 v14, v39
	ds_store_b16 v14, v41 offset:100
	ds_store_b16 v14, v47 offset:200
	;; [unrolled: 1-line block ×5, first 2 shown]
	s_waitcnt lgkmcnt(0)
	s_barrier
	buffer_gl0_inv
	s_and_saveexec_b32 s0, vcc_lo
	s_cbranch_execz .LBB0_19
; %bb.18:
	v_mad_u64_u32 v[36:37], null, s8, v19, 0
	v_mad_u64_u32 v[38:39], null, s8, v21, 0
	v_mul_hi_u32 v58, 0x1b4e81b5, v26
	v_add_nc_u32_e32 v80, 0xf0, v19
	v_add_nc_u32_e32 v66, 0x14a, v19
	;; [unrolled: 1-line block ×3, first 2 shown]
	v_mad_u64_u32 v[40:41], null, s8, v25, 0
	s_delay_alu instid0(VALU_DEP_4) | instskip(SKIP_4) | instid1(VALU_DEP_4)
	v_mad_u64_u32 v[54:55], null, s8, v80, 0
	v_add_nc_u32_e32 v79, 0xd2, v19
	v_lshrrev_b32_e32 v82, 4, v58
	v_mad_u64_u32 v[58:59], null, s9, v19, v[37:38]
	v_add_nc_u32_e32 v64, 0x96, v19
	v_mad_u64_u32 v[52:53], null, s8, v79, 0
	v_add_nc_u32_e32 v65, 0x12c, v19
	v_mad_u64_u32 v[50:51], null, s8, v66, 0
	s_delay_alu instid0(VALU_DEP_4) | instskip(SKIP_1) | instid1(VALU_DEP_4)
	v_mad_u64_u32 v[46:47], null, s8, v64, 0
	v_lshlrev_b32_e32 v14, 1, v26
	v_mad_u64_u32 v[48:49], null, s8, v65, 0
	v_mad_u64_u32 v[56:57], null, s8, v81, 0
	;; [unrolled: 1-line block ×3, first 2 shown]
	v_mov_b32_e32 v19, v47
	v_lshlrev_b64 v[30:31], 2, v[14:15]
	v_dual_mov_b32 v37, v49 :: v_dual_lshlrev_b32 v14, 1, v18
	v_mad_u64_u32 v[44:45], null, s8, v18, 0
	v_mad_u32_u24 v82, 0x12c, v82, v26
	s_delay_alu instid0(VALU_DEP_3) | instskip(SKIP_3) | instid1(VALU_DEP_3)
	v_lshlrev_b64 v[32:33], 2, v[14:15]
	v_lshlrev_b32_e32 v14, 1, v25
	v_add_co_u32 v30, vcc_lo, s4, v30
	v_add_co_ci_u32_e32 v31, vcc_lo, s5, v31, vcc_lo
	v_lshlrev_b64 v[34:35], 2, v[14:15]
	v_lshlrev_b32_e32 v14, 1, v24
	v_add_co_u32 v32, vcc_lo, s4, v32
	v_add_co_ci_u32_e32 v33, vcc_lo, s5, v33, vcc_lo
	s_delay_alu instid0(VALU_DEP_3)
	v_lshlrev_b64 v[14:15], 2, v[14:15]
	v_add_co_u32 v34, vcc_lo, s4, v34
	v_add_co_ci_u32_e32 v35, vcc_lo, s5, v35, vcc_lo
	s_clause 0x1
	global_load_b64 v[30:31], v[30:31], off offset:560
	global_load_b64 v[32:33], v[32:33], off offset:560
	v_add_co_u32 v14, vcc_lo, s4, v14
	v_add_co_ci_u32_e32 v15, vcc_lo, s5, v15, vcc_lo
	s_clause 0x1
	global_load_b64 v[34:35], v[34:35], off offset:560
	global_load_b64 v[16:17], v[16:17], off offset:560
	v_add_co_u32 v77, vcc_lo, s10, v12
	global_load_b64 v[14:15], v[14:15], off offset:560
	v_add_co_ci_u32_e32 v78, vcc_lo, s11, v13, vcc_lo
	v_mad_u64_u32 v[12:13], null, s8, v24, 0
	ds_load_u16 v67, v23 offset:840
	ds_load_u16 v68, v23 offset:780
	;; [unrolled: 1-line block ×10, first 2 shown]
	s_waitcnt vmcnt(0)
	v_mad_u64_u32 v[59:60], null, s9, v24, v[13:14]
	v_mad_u64_u32 v[60:61], null, s9, v21, v[39:40]
	;; [unrolled: 1-line block ×4, first 2 shown]
	v_dual_mov_b32 v20, v53 :: v_dual_mov_b32 v13, v51
	v_mad_u64_u32 v[62:63], null, s9, v18, v[45:46]
	v_mov_b32_e32 v18, v55
	s_delay_alu instid0(VALU_DEP_3)
	v_mad_u64_u32 v[25:26], null, s9, v64, v[19:20]
	v_mov_b32_e32 v19, v57
	v_mad_u64_u32 v[63:64], null, s9, v65, v[37:38]
	v_mad_u64_u32 v[64:65], null, s9, v66, v[13:14]
	;; [unrolled: 1-line block ×3, first 2 shown]
	v_mov_b32_e32 v39, v60
	v_mad_u64_u32 v[20:21], null, s9, v80, v[18:19]
	v_mov_b32_e32 v37, v58
	ds_load_u16 v26, v23 offset:240
	ds_load_u16 v66, v23 offset:180
	;; [unrolled: 1-line block ×4, first 2 shown]
	ds_load_u16 v83, v22
	v_dual_mov_b32 v13, v59 :: v_dual_add_nc_u32 v84, 0x12c, v82
	v_mov_b32_e32 v41, v61
	v_lshlrev_b64 v[36:37], 2, v[36:37]
	v_mad_u64_u32 v[21:22], null, s9, v81, v[19:20]
	v_add_nc_u32_e32 v81, 0x96, v82
	v_mov_b32_e32 v47, v25
	v_mad_u64_u32 v[18:19], null, s8, v82, 0
	v_lshlrev_b64 v[12:13], 2, v[12:13]
	s_delay_alu instid0(VALU_DEP_4)
	v_mad_u64_u32 v[22:23], null, s8, v81, 0
	v_mad_u64_u32 v[58:59], null, s8, v84, 0
	v_mov_b32_e32 v55, v20
	v_mov_b32_e32 v57, v21
	v_lshlrev_b64 v[20:21], 2, v[46:47]
	v_mov_b32_e32 v43, v24
	v_lshlrev_b64 v[24:25], 2, v[38:39]
	v_mov_b32_e32 v51, v64
	v_add_co_u32 v36, vcc_lo, v77, v36
	v_add_co_ci_u32_e32 v37, vcc_lo, v78, v37, vcc_lo
	v_add_co_u32 v12, vcc_lo, v77, v12
	v_mov_b32_e32 v45, v62
	v_mov_b32_e32 v49, v63
	;; [unrolled: 1-line block ×3, first 2 shown]
	v_lshlrev_b64 v[46:47], 2, v[50:51]
	v_lshlrev_b64 v[50:51], 2, v[54:55]
	v_mad_u64_u32 v[54:55], null, s9, v82, v[19:20]
	v_mov_b32_e32 v19, v23
	v_add_co_ci_u32_e32 v13, vcc_lo, v78, v13, vcc_lo
	v_mov_b32_e32 v23, v59
	v_add_co_u32 v24, vcc_lo, v77, v24
	v_lshlrev_b64 v[38:39], 2, v[40:41]
	v_lshlrev_b64 v[40:41], 2, v[42:43]
	;; [unrolled: 1-line block ×6, first 2 shown]
	v_mad_u64_u32 v[55:56], null, s9, v81, v[19:20]
	v_mad_u64_u32 v[56:57], null, s9, v84, v[23:24]
	v_lshrrev_b32_e32 v57, 16, v31
	v_mov_b32_e32 v19, v54
	v_lshrrev_b32_e32 v60, 16, v32
	v_lshrrev_b32_e32 v61, 16, v33
	v_mov_b32_e32 v23, v55
	v_add_co_ci_u32_e32 v25, vcc_lo, v78, v25, vcc_lo
	v_mov_b32_e32 v59, v56
	v_lshrrev_b32_e32 v56, 16, v30
	v_add_co_u32 v38, vcc_lo, v77, v38
	v_lshrrev_b32_e32 v62, 16, v16
	s_delay_alu instid0(VALU_DEP_4) | instskip(NEXT) | instid1(VALU_DEP_4)
	v_lshlrev_b64 v[54:55], 2, v[58:59]
	v_mul_f16_e32 v58, v29, v56
	v_mul_f16_e32 v59, v28, v57
	s_waitcnt lgkmcnt(9)
	v_mul_f16_e32 v56, v72, v56
	v_mul_f16_e32 v57, v67, v57
	v_lshrrev_b32_e32 v63, 16, v17
	v_fma_f16 v58, v72, v30, -v58
	v_fma_f16 v59, v67, v31, -v59
	v_fmac_f16_e32 v56, v29, v30
	v_fmac_f16_e32 v57, v28, v31
	v_mul_f16_e32 v28, v11, v60
	v_mul_f16_e32 v29, v27, v61
	s_waitcnt lgkmcnt(8)
	v_mul_f16_e32 v30, v73, v60
	v_mul_f16_e32 v31, v68, v61
	v_lshrrev_b32_e32 v60, 16, v34
	v_lshrrev_b32_e32 v61, 16, v35
	v_add_co_ci_u32_e32 v39, vcc_lo, v78, v39, vcc_lo
	v_add_co_u32 v40, vcc_lo, v77, v40
	v_add_f16_e32 v64, v58, v59
	v_sub_f16_e32 v65, v56, v57
	s_waitcnt lgkmcnt(4)
	v_add_f16_e32 v67, v26, v58
	v_add_f16_e32 v72, v56, v57
	;; [unrolled: 1-line block ×3, first 2 shown]
	v_fma_f16 v28, v73, v32, -v28
	v_fma_f16 v29, v68, v33, -v29
	v_fmac_f16_e32 v30, v11, v32
	v_fmac_f16_e32 v31, v27, v33
	v_mul_f16_e32 v11, v7, v60
	v_mul_f16_e32 v27, v9, v61
	v_mul_f16_e32 v32, v74, v60
	v_mul_f16_e32 v33, v69, v61
	v_lshrrev_b32_e32 v60, 16, v14
	v_lshrrev_b32_e32 v61, 16, v15
	v_add_co_ci_u32_e32 v41, vcc_lo, v78, v41, vcc_lo
	v_mul_f16_e32 v68, v6, v62
	v_mul_f16_e32 v73, v8, v63
	;; [unrolled: 1-line block ×4, first 2 shown]
	v_add_co_u32 v42, vcc_lo, v77, v42
	v_add_co_ci_u32_e32 v43, vcc_lo, v78, v43, vcc_lo
	v_sub_f16_e32 v58, v58, v59
	v_fma_f16 v26, -0.5, v64, v26
	v_add_f16_e32 v59, v67, v59
	v_fma_f16 v10, -0.5, v72, v10
	v_add_f16_e32 v56, v56, v57
	v_add_f16_e32 v57, v28, v29
	v_sub_f16_e32 v64, v30, v31
	s_waitcnt lgkmcnt(3)
	v_add_f16_e32 v67, v66, v28
	v_add_f16_e32 v72, v30, v31
	;; [unrolled: 1-line block ×3, first 2 shown]
	v_fma_f16 v11, v74, v34, -v11
	v_fma_f16 v27, v69, v35, -v27
	v_fmac_f16_e32 v32, v7, v34
	v_fmac_f16_e32 v33, v9, v35
	v_mul_f16_e32 v7, v3, v60
	v_mul_f16_e32 v9, v4, v61
	;; [unrolled: 1-line block ×4, first 2 shown]
	v_add_co_u32 v20, vcc_lo, v77, v20
	v_fma_f16 v60, v76, v16, -v68
	v_fma_f16 v61, v71, v17, -v73
	v_fmac_f16_e32 v62, v6, v16
	v_fmac_f16_e32 v63, v8, v17
	v_add_co_ci_u32_e32 v21, vcc_lo, v78, v21, vcc_lo
	v_add_co_u32 v44, vcc_lo, v77, v44
	v_sub_f16_e32 v28, v28, v29
	v_fmamk_f16 v8, v58, 0x3aee, v10
	v_fmac_f16_e32 v10, 0xbaee, v58
	v_fma_f16 v16, -0.5, v57, v66
	v_add_f16_e32 v17, v67, v29
	v_fma_f16 v5, -0.5, v72, v5
	v_add_f16_e32 v29, v30, v31
	v_add_f16_e32 v30, v11, v27
	v_sub_f16_e32 v31, v32, v33
	v_add_f16_e32 v58, v32, v33
	v_add_f16_e32 v32, v2, v32
	v_fma_f16 v7, v75, v14, -v7
	v_fma_f16 v9, v70, v15, -v9
	v_fmac_f16_e32 v34, v3, v14
	v_fmac_f16_e32 v35, v4, v15
	v_add_co_ci_u32_e32 v45, vcc_lo, v78, v45, vcc_lo
	v_add_co_u32 v46, vcc_lo, v77, v46
	v_add_f16_e32 v3, v60, v61
	v_add_f16_e32 v15, v62, v63
	v_add_co_ci_u32_e32 v47, vcc_lo, v78, v47, vcc_lo
	s_waitcnt lgkmcnt(2)
	v_add_f16_e32 v57, v79, v11
	v_add_co_u32 v48, vcc_lo, v77, v48
	v_fmamk_f16 v6, v65, 0xbaee, v26
	v_fmac_f16_e32 v26, 0x3aee, v65
	v_sub_f16_e32 v11, v11, v27
	v_sub_f16_e32 v4, v62, v63
	s_waitcnt lgkmcnt(0)
	v_add_f16_e32 v14, v83, v60
	v_add_f16_e32 v62, v1, v62
	v_pack_b32_f16 v56, v56, v59
	v_fmamk_f16 v59, v64, 0xbaee, v16
	v_fmac_f16_e32 v16, 0x3aee, v64
	v_fmamk_f16 v64, v28, 0x3aee, v5
	v_fmac_f16_e32 v5, 0xbaee, v28
	v_fma_f16 v28, -0.5, v30, v79
	v_fma_f16 v2, -0.5, v58, v2
	v_add_f16_e32 v30, v32, v33
	v_add_f16_e32 v32, v7, v9
	;; [unrolled: 1-line block ×3, first 2 shown]
	v_add_co_ci_u32_e32 v49, vcc_lo, v78, v49, vcc_lo
	v_sub_f16_e32 v60, v60, v61
	v_fma_f16 v3, -0.5, v3, v83
	v_fma_f16 v1, -0.5, v15, v1
	v_add_co_u32 v50, vcc_lo, v77, v50
	v_lshlrev_b64 v[18:19], 2, v[18:19]
	v_add_f16_e32 v27, v57, v27
	v_sub_f16_e32 v33, v34, v35
	v_add_f16_e32 v57, v80, v7
	v_add_f16_e32 v34, v0, v34
	v_add_co_ci_u32_e32 v51, vcc_lo, v78, v51, vcc_lo
	v_sub_f16_e32 v7, v7, v9
	v_add_f16_e32 v14, v14, v61
	v_add_f16_e32 v15, v62, v63
	v_pack_b32_f16 v10, v10, v26
	v_fmamk_f16 v26, v11, 0x3aee, v2
	v_fmac_f16_e32 v2, 0xbaee, v11
	v_fma_f16 v11, -0.5, v32, v80
	v_fma_f16 v0, -0.5, v58, v0
	v_add_co_u32 v52, vcc_lo, v77, v52
	v_lshlrev_b64 v[22:23], 2, v[22:23]
	v_pack_b32_f16 v6, v8, v6
	v_fmamk_f16 v8, v31, 0xbaee, v28
	v_fmac_f16_e32 v28, 0x3aee, v31
	v_fmamk_f16 v31, v4, 0xbaee, v3
	v_fmac_f16_e32 v3, 0x3aee, v4
	;; [unrolled: 2-line block ×3, first 2 shown]
	v_add_co_ci_u32_e32 v53, vcc_lo, v78, v53, vcc_lo
	v_add_co_u32 v18, vcc_lo, v77, v18
	v_pack_b32_f16 v17, v29, v17
	v_add_f16_e32 v9, v57, v9
	v_add_f16_e32 v29, v34, v35
	v_pack_b32_f16 v14, v15, v14
	v_pack_b32_f16 v15, v30, v27
	v_fmamk_f16 v27, v33, 0xbaee, v11
	v_fmac_f16_e32 v11, 0x3aee, v33
	v_fmamk_f16 v30, v7, 0x3aee, v0
	v_fmac_f16_e32 v0, 0xbaee, v7
	v_add_co_ci_u32_e32 v19, vcc_lo, v78, v19, vcc_lo
	v_add_co_u32 v22, vcc_lo, v77, v22
	v_pack_b32_f16 v1, v1, v3
	v_pack_b32_f16 v3, v4, v31
	v_add_co_ci_u32_e32 v23, vcc_lo, v78, v23, vcc_lo
	v_pack_b32_f16 v4, v29, v9
	v_add_co_u32 v54, vcc_lo, v77, v54
	v_pack_b32_f16 v0, v0, v11
	v_pack_b32_f16 v7, v26, v8
	;; [unrolled: 1-line block ×3, first 2 shown]
	v_add_co_ci_u32_e32 v55, vcc_lo, v78, v55, vcc_lo
	v_pack_b32_f16 v5, v5, v16
	v_pack_b32_f16 v16, v64, v59
	global_store_b32 v[36:37], v14, off
	v_pack_b32_f16 v2, v2, v28
	s_clause 0xd
	global_store_b32 v[20:21], v1, off
	global_store_b32 v[44:45], v3, off
	;; [unrolled: 1-line block ×14, first 2 shown]
.LBB0_19:
	s_nop 0
	s_sendmsg sendmsg(MSG_DEALLOC_VGPRS)
	s_endpgm
	.section	.rodata,"a",@progbits
	.p2align	6, 0x0
	.amdhsa_kernel fft_rtc_back_len450_factors_10_5_3_3_wgs_120_tpt_30_halfLds_half_ip_CI_sbrr_dirReg
		.amdhsa_group_segment_fixed_size 0
		.amdhsa_private_segment_fixed_size 0
		.amdhsa_kernarg_size 88
		.amdhsa_user_sgpr_count 15
		.amdhsa_user_sgpr_dispatch_ptr 0
		.amdhsa_user_sgpr_queue_ptr 0
		.amdhsa_user_sgpr_kernarg_segment_ptr 1
		.amdhsa_user_sgpr_dispatch_id 0
		.amdhsa_user_sgpr_private_segment_size 0
		.amdhsa_wavefront_size32 1
		.amdhsa_uses_dynamic_stack 0
		.amdhsa_enable_private_segment 0
		.amdhsa_system_sgpr_workgroup_id_x 1
		.amdhsa_system_sgpr_workgroup_id_y 0
		.amdhsa_system_sgpr_workgroup_id_z 0
		.amdhsa_system_sgpr_workgroup_info 0
		.amdhsa_system_vgpr_workitem_id 0
		.amdhsa_next_free_vgpr 92
		.amdhsa_next_free_sgpr 23
		.amdhsa_reserve_vcc 1
		.amdhsa_float_round_mode_32 0
		.amdhsa_float_round_mode_16_64 0
		.amdhsa_float_denorm_mode_32 3
		.amdhsa_float_denorm_mode_16_64 3
		.amdhsa_dx10_clamp 1
		.amdhsa_ieee_mode 1
		.amdhsa_fp16_overflow 0
		.amdhsa_workgroup_processor_mode 1
		.amdhsa_memory_ordered 1
		.amdhsa_forward_progress 0
		.amdhsa_shared_vgpr_count 0
		.amdhsa_exception_fp_ieee_invalid_op 0
		.amdhsa_exception_fp_denorm_src 0
		.amdhsa_exception_fp_ieee_div_zero 0
		.amdhsa_exception_fp_ieee_overflow 0
		.amdhsa_exception_fp_ieee_underflow 0
		.amdhsa_exception_fp_ieee_inexact 0
		.amdhsa_exception_int_div_zero 0
	.end_amdhsa_kernel
	.text
.Lfunc_end0:
	.size	fft_rtc_back_len450_factors_10_5_3_3_wgs_120_tpt_30_halfLds_half_ip_CI_sbrr_dirReg, .Lfunc_end0-fft_rtc_back_len450_factors_10_5_3_3_wgs_120_tpt_30_halfLds_half_ip_CI_sbrr_dirReg
                                        ; -- End function
	.section	.AMDGPU.csdata,"",@progbits
; Kernel info:
; codeLenInByte = 10880
; NumSgprs: 25
; NumVgprs: 92
; ScratchSize: 0
; MemoryBound: 0
; FloatMode: 240
; IeeeMode: 1
; LDSByteSize: 0 bytes/workgroup (compile time only)
; SGPRBlocks: 3
; VGPRBlocks: 11
; NumSGPRsForWavesPerEU: 25
; NumVGPRsForWavesPerEU: 92
; Occupancy: 16
; WaveLimiterHint : 1
; COMPUTE_PGM_RSRC2:SCRATCH_EN: 0
; COMPUTE_PGM_RSRC2:USER_SGPR: 15
; COMPUTE_PGM_RSRC2:TRAP_HANDLER: 0
; COMPUTE_PGM_RSRC2:TGID_X_EN: 1
; COMPUTE_PGM_RSRC2:TGID_Y_EN: 0
; COMPUTE_PGM_RSRC2:TGID_Z_EN: 0
; COMPUTE_PGM_RSRC2:TIDIG_COMP_CNT: 0
	.text
	.p2alignl 7, 3214868480
	.fill 96, 4, 3214868480
	.type	__hip_cuid_1b3f003513c2996f,@object ; @__hip_cuid_1b3f003513c2996f
	.section	.bss,"aw",@nobits
	.globl	__hip_cuid_1b3f003513c2996f
__hip_cuid_1b3f003513c2996f:
	.byte	0                               ; 0x0
	.size	__hip_cuid_1b3f003513c2996f, 1

	.ident	"AMD clang version 19.0.0git (https://github.com/RadeonOpenCompute/llvm-project roc-6.4.0 25133 c7fe45cf4b819c5991fe208aaa96edf142730f1d)"
	.section	".note.GNU-stack","",@progbits
	.addrsig
	.addrsig_sym __hip_cuid_1b3f003513c2996f
	.amdgpu_metadata
---
amdhsa.kernels:
  - .args:
      - .actual_access:  read_only
        .address_space:  global
        .offset:         0
        .size:           8
        .value_kind:     global_buffer
      - .offset:         8
        .size:           8
        .value_kind:     by_value
      - .actual_access:  read_only
        .address_space:  global
        .offset:         16
        .size:           8
        .value_kind:     global_buffer
      - .actual_access:  read_only
        .address_space:  global
        .offset:         24
        .size:           8
        .value_kind:     global_buffer
      - .offset:         32
        .size:           8
        .value_kind:     by_value
      - .actual_access:  read_only
        .address_space:  global
        .offset:         40
        .size:           8
        .value_kind:     global_buffer
      - .actual_access:  read_only
        .address_space:  global
        .offset:         48
        .size:           8
        .value_kind:     global_buffer
      - .offset:         56
        .size:           4
        .value_kind:     by_value
      - .actual_access:  read_only
        .address_space:  global
        .offset:         64
        .size:           8
        .value_kind:     global_buffer
      - .actual_access:  read_only
        .address_space:  global
        .offset:         72
        .size:           8
        .value_kind:     global_buffer
      - .address_space:  global
        .offset:         80
        .size:           8
        .value_kind:     global_buffer
    .group_segment_fixed_size: 0
    .kernarg_segment_align: 8
    .kernarg_segment_size: 88
    .language:       OpenCL C
    .language_version:
      - 2
      - 0
    .max_flat_workgroup_size: 120
    .name:           fft_rtc_back_len450_factors_10_5_3_3_wgs_120_tpt_30_halfLds_half_ip_CI_sbrr_dirReg
    .private_segment_fixed_size: 0
    .sgpr_count:     25
    .sgpr_spill_count: 0
    .symbol:         fft_rtc_back_len450_factors_10_5_3_3_wgs_120_tpt_30_halfLds_half_ip_CI_sbrr_dirReg.kd
    .uniform_work_group_size: 1
    .uses_dynamic_stack: false
    .vgpr_count:     92
    .vgpr_spill_count: 0
    .wavefront_size: 32
    .workgroup_processor_mode: 1
amdhsa.target:   amdgcn-amd-amdhsa--gfx1100
amdhsa.version:
  - 1
  - 2
...

	.end_amdgpu_metadata
